;; amdgpu-corpus repo=ROCm/rocFFT kind=compiled arch=gfx906 opt=O3
	.text
	.amdgcn_target "amdgcn-amd-amdhsa--gfx906"
	.amdhsa_code_object_version 6
	.protected	bluestein_single_back_len1458_dim1_dp_op_CI_CI ; -- Begin function bluestein_single_back_len1458_dim1_dp_op_CI_CI
	.globl	bluestein_single_back_len1458_dim1_dp_op_CI_CI
	.p2align	8
	.type	bluestein_single_back_len1458_dim1_dp_op_CI_CI,@function
bluestein_single_back_len1458_dim1_dp_op_CI_CI: ; @bluestein_single_back_len1458_dim1_dp_op_CI_CI
; %bb.0:
	s_load_dwordx4 s[12:15], s[4:5], 0x28
	v_mul_u32_u24_e32 v1, 0x10e, v0
	v_add_u32_sdwa v128, s6, v1 dst_sel:DWORD dst_unused:UNUSED_PAD src0_sel:DWORD src1_sel:WORD_1
	v_mov_b32_e32 v129, 0
	s_waitcnt lgkmcnt(0)
	v_cmp_gt_u64_e32 vcc, s[12:13], v[128:129]
	s_and_saveexec_b64 s[0:1], vcc
	s_cbranch_execz .LBB0_2
; %bb.1:
	s_load_dwordx4 s[0:3], s[4:5], 0x18
	s_load_dwordx4 s[8:11], s[4:5], 0x0
	s_movk_i32 s13, 0xf3
	v_mul_lo_u16_sdwa v1, v1, s13 dst_sel:DWORD dst_unused:UNUSED_PAD src0_sel:WORD_1 src1_sel:DWORD
	v_sub_u16_e32 v130, v0, v1
	s_waitcnt lgkmcnt(0)
	s_load_dwordx4 s[16:19], s[0:1], 0x0
	v_lshlrev_b32_e32 v129, 4, v130
	s_movk_i32 s12, 0x1000
	s_movk_i32 s6, 0x2000
	v_mov_b32_e32 v89, s11
	s_waitcnt lgkmcnt(0)
	v_mad_u64_u32 v[0:1], s[0:1], s18, v128, 0
	v_mad_u64_u32 v[2:3], s[0:1], s16, v130, 0
	v_mad_u64_u32 v[4:5], s[0:1], s19, v128, v[1:2]
	v_mad_u64_u32 v[5:6], s[0:1], s17, v130, v[3:4]
	v_mov_b32_e32 v1, v4
	v_lshlrev_b64 v[0:1], 4, v[0:1]
	v_mov_b32_e32 v6, s15
	v_mov_b32_e32 v3, v5
	v_add_co_u32_e32 v4, vcc, s14, v0
	v_addc_co_u32_e32 v5, vcc, v6, v1, vcc
	v_lshlrev_b64 v[0:1], 4, v[2:3]
	v_mov_b32_e32 v2, s9
	v_add_co_u32_e32 v0, vcc, v4, v0
	v_addc_co_u32_e32 v1, vcc, v5, v1, vcc
	v_add_co_u32_e32 v112, vcc, s8, v129
	s_mul_i32 s0, s17, 0xf30
	s_mul_hi_u32 s1, s16, 0xf30
	v_addc_co_u32_e32 v113, vcc, 0, v2, vcc
	s_add_i32 s0, s1, s0
	s_mul_i32 s1, s16, 0xf30
	v_mov_b32_e32 v2, s0
	v_add_co_u32_e32 v8, vcc, s1, v0
	v_addc_co_u32_e32 v9, vcc, v1, v2, vcc
	v_mov_b32_e32 v10, s0
	v_add_co_u32_e32 v12, vcc, s1, v8
	v_addc_co_u32_e32 v13, vcc, v9, v10, vcc
	global_load_dwordx4 v[24:27], v[0:1], off
	s_nop 0
	global_load_dwordx4 v[0:3], v129, s[8:9]
	global_load_dwordx4 v[4:7], v129, s[8:9] offset:3888
	global_load_dwordx4 v[28:31], v[8:9], off
	global_load_dwordx4 v[32:35], v[12:13], off
	v_add_co_u32_e32 v8, vcc, s12, v112
	v_addc_co_u32_e32 v9, vcc, 0, v113, vcc
	v_mov_b32_e32 v14, s0
	v_add_co_u32_e32 v16, vcc, s1, v12
	v_addc_co_u32_e32 v17, vcc, v13, v14, vcc
	v_add_co_u32_e32 v12, vcc, s6, v112
	v_addc_co_u32_e32 v13, vcc, 0, v113, vcc
	v_mov_b32_e32 v18, s0
	v_add_co_u32_e32 v20, vcc, s1, v16
	v_addc_co_u32_e32 v21, vcc, v17, v18, vcc
	s_movk_i32 s6, 0x3000
	global_load_dwordx4 v[36:39], v[16:17], off
	global_load_dwordx4 v[40:43], v[20:21], off
	v_add_co_u32_e32 v16, vcc, s6, v112
	v_addc_co_u32_e32 v17, vcc, 0, v113, vcc
	v_mov_b32_e32 v22, s0
	v_add_co_u32_e32 v48, vcc, s1, v20
	global_load_dwordx4 v[8:11], v[8:9], off offset:3680
	v_addc_co_u32_e32 v49, vcc, v21, v22, vcc
	global_load_dwordx4 v[12:15], v[12:13], off offset:3472
	s_movk_i32 s0, 0x4000
	v_add_co_u32_e32 v50, vcc, s0, v112
	global_load_dwordx4 v[16:19], v[16:17], off offset:3264
	v_addc_co_u32_e32 v51, vcc, 0, v113, vcc
	global_load_dwordx4 v[20:23], v[50:51], off offset:3056
	global_load_dwordx4 v[44:47], v[48:49], off
	s_load_dwordx4 s[0:3], s[2:3], 0x0
	s_mov_b32 s6, 0xe8584caa
	s_mov_b32 s7, 0x3febb67a
	;; [unrolled: 1-line block ×4, first 2 shown]
	v_add_co_u32_e32 v88, vcc, s13, v130
	s_movk_i32 s13, 0xab
	s_movk_i32 s16, 0x6523
	s_waitcnt vmcnt(10)
	v_mul_f64 v[48:49], v[26:27], v[2:3]
	v_mul_f64 v[50:51], v[24:25], v[2:3]
	s_waitcnt vmcnt(8)
	v_mul_f64 v[52:53], v[30:31], v[6:7]
	v_mul_f64 v[54:55], v[28:29], v[6:7]
	v_fma_f64 v[24:25], v[24:25], v[0:1], v[48:49]
	v_fma_f64 v[26:27], v[26:27], v[0:1], -v[50:51]
	v_fma_f64 v[28:29], v[28:29], v[4:5], v[52:53]
	v_fma_f64 v[30:31], v[30:31], v[4:5], -v[54:55]
	s_waitcnt vmcnt(4)
	v_mul_f64 v[56:57], v[34:35], v[10:11]
	v_mul_f64 v[58:59], v[32:33], v[10:11]
	s_waitcnt vmcnt(3)
	v_mul_f64 v[60:61], v[38:39], v[14:15]
	v_mul_f64 v[62:63], v[36:37], v[14:15]
	;; [unrolled: 3-line block ×3, first 2 shown]
	v_fma_f64 v[32:33], v[32:33], v[8:9], v[56:57]
	s_waitcnt vmcnt(0)
	v_mul_f64 v[68:69], v[46:47], v[22:23]
	v_mul_f64 v[70:71], v[44:45], v[22:23]
	v_fma_f64 v[34:35], v[34:35], v[8:9], -v[58:59]
	v_fma_f64 v[36:37], v[36:37], v[12:13], v[60:61]
	v_fma_f64 v[38:39], v[38:39], v[12:13], -v[62:63]
	v_fma_f64 v[40:41], v[40:41], v[16:17], v[64:65]
	;; [unrolled: 2-line block ×3, first 2 shown]
	v_fma_f64 v[46:47], v[46:47], v[20:21], -v[70:71]
	ds_write_b128 v129, v[24:27]
	ds_write_b128 v129, v[28:31] offset:3888
	ds_write_b128 v129, v[32:35] offset:7776
	;; [unrolled: 1-line block ×5, first 2 shown]
	s_waitcnt lgkmcnt(0)
	s_barrier
	ds_read_b128 v[24:27], v129
	ds_read_b128 v[28:31], v129 offset:7776
	ds_read_b128 v[32:35], v129 offset:15552
	;; [unrolled: 1-line block ×5, first 2 shown]
	s_waitcnt lgkmcnt(4)
	v_add_f64 v[48:49], v[24:25], v[28:29]
	s_waitcnt lgkmcnt(3)
	v_add_f64 v[50:51], v[28:29], v[32:33]
	v_add_f64 v[60:61], v[30:31], v[34:35]
	s_waitcnt lgkmcnt(1)
	v_add_f64 v[52:53], v[36:37], v[40:41]
	v_add_f64 v[54:55], v[38:39], v[42:43]
	v_add_f64 v[56:57], v[36:37], -v[40:41]
	v_add_f64 v[58:59], v[38:39], -v[42:43]
	;; [unrolled: 1-line block ×3, first 2 shown]
	v_add_f64 v[48:49], v[48:49], v[32:33]
	v_fma_f64 v[24:25], v[50:51], -0.5, v[24:25]
	v_add_f64 v[50:51], v[30:31], -v[34:35]
	s_waitcnt lgkmcnt(0)
	v_fma_f64 v[52:53], v[52:53], -0.5, v[44:45]
	v_fma_f64 v[54:55], v[54:55], -0.5, v[46:47]
	v_add_f64 v[30:31], v[26:27], v[30:31]
	v_fma_f64 v[26:27], v[60:61], -0.5, v[26:27]
	s_barrier
	v_fma_f64 v[62:63], v[50:51], s[6:7], v[24:25]
	v_fma_f64 v[50:51], v[50:51], s[8:9], v[24:25]
	;; [unrolled: 1-line block ×6, first 2 shown]
	v_add_f64 v[56:57], v[30:31], v[34:35]
	v_add_f64 v[30:31], v[44:45], v[36:37]
	v_add_f64 v[36:37], v[46:47], v[38:39]
	v_fma_f64 v[46:47], v[28:29], s[8:9], v[26:27]
	v_mul_f64 v[32:33], v[24:25], s[6:7]
	v_mul_f64 v[34:35], v[64:65], -0.5
	v_mul_f64 v[38:39], v[52:53], s[8:9]
	v_mul_f64 v[44:45], v[54:55], -0.5
	v_fma_f64 v[58:59], v[28:29], s[6:7], v[26:27]
	v_add_f64 v[40:41], v[30:31], v[40:41]
	v_add_f64 v[42:43], v[36:37], v[42:43]
	v_fma_f64 v[52:53], v[52:53], 0.5, v[32:33]
	v_fma_f64 v[54:55], v[54:55], s[6:7], v[34:35]
	v_fma_f64 v[60:61], v[24:25], 0.5, v[38:39]
	v_fma_f64 v[64:65], v[64:65], s[8:9], v[44:45]
	v_add_f64 v[24:25], v[48:49], v[40:41]
	v_add_f64 v[26:27], v[56:57], v[42:43]
	v_add_f64 v[36:37], v[48:49], -v[40:41]
	v_add_f64 v[28:29], v[62:63], v[52:53]
	v_add_f64 v[32:33], v[50:51], v[54:55]
	;; [unrolled: 1-line block ×4, first 2 shown]
	v_add_f64 v[38:39], v[56:57], -v[42:43]
	v_add_f64 v[40:41], v[62:63], -v[52:53]
	;; [unrolled: 1-line block ×5, first 2 shown]
	v_mul_lo_u16_e32 v48, 6, v130
	v_lshlrev_b32_e32 v131, 4, v48
	ds_write_b128 v131, v[24:27]
	ds_write_b128 v131, v[28:31] offset:16
	ds_write_b128 v131, v[32:35] offset:32
	;; [unrolled: 1-line block ×5, first 2 shown]
	v_mul_lo_u16_sdwa v24, v130, s13 dst_sel:DWORD dst_unused:UNUSED_PAD src0_sel:BYTE_0 src1_sel:DWORD
	v_lshrrev_b16_e32 v40, 10, v24
	v_mul_lo_u16_e32 v24, 6, v40
	v_sub_u16_e32 v24, v130, v24
	v_and_b32_e32 v41, 0xff, v24
	v_lshlrev_b32_e32 v32, 5, v41
	s_mov_b32 s13, 0xaaab
	s_waitcnt lgkmcnt(0)
	s_barrier
	global_load_dwordx4 v[24:27], v32, s[10:11] offset:16
	global_load_dwordx4 v[28:31], v32, s[10:11]
	v_mul_u32_u24_sdwa v32, v88, s13 dst_sel:DWORD dst_unused:UNUSED_PAD src0_sel:WORD_0 src1_sel:DWORD
	v_lshrrev_b32_e32 v42, 18, v32
	v_mul_lo_u16_e32 v32, 6, v42
	v_sub_u16_e32 v43, v88, v32
	v_lshlrev_b16_e32 v32, 1, v43
	v_lshlrev_b32_e32 v44, 4, v32
	global_load_dwordx4 v[36:39], v44, s[10:11]
	global_load_dwordx4 v[32:35], v44, s[10:11] offset:16
	v_mov_b32_e32 v44, 57
	v_mul_lo_u16_sdwa v44, v130, v44 dst_sel:DWORD dst_unused:UNUSED_PAD src0_sel:BYTE_0 src1_sel:DWORD
	s_mov_b32 s13, 0xe38f
	v_lshrrev_b16_e32 v84, 10, v44
	v_mul_u32_u24_sdwa v44, v88, s13 dst_sel:DWORD dst_unused:UNUSED_PAD src0_sel:WORD_0 src1_sel:DWORD
	v_mul_u32_u24_e32 v40, 18, v40
	v_mul_lo_u16_e32 v45, 18, v84
	v_lshrrev_b32_e32 v85, 20, v44
	v_sub_u16_e32 v44, v130, v45
	v_add_lshl_u32 v132, v40, v41, 4
	v_mad_legacy_u16 v40, v42, 18, v43
	v_and_b32_e32 v86, 0xff, v44
	v_lshlrev_b32_e32 v133, 4, v40
	ds_read_b128 v[40:43], v129 offset:7776
	ds_read_b128 v[44:47], v129 offset:15552
	ds_read_b128 v[48:51], v129
	ds_read_b128 v[52:55], v129 offset:3888
	ds_read_b128 v[56:59], v129 offset:11664
	;; [unrolled: 1-line block ×3, first 2 shown]
	s_waitcnt vmcnt(0) lgkmcnt(0)
	s_barrier
	v_lshlrev_b32_e32 v87, 5, v86
	s_movk_i32 s13, 0xff5e
	v_mul_f64 v[68:69], v[46:47], v[26:27]
	v_mul_f64 v[64:65], v[42:43], v[30:31]
	;; [unrolled: 1-line block ×8, first 2 shown]
	v_fma_f64 v[40:41], v[40:41], v[28:29], -v[64:65]
	v_fma_f64 v[42:43], v[42:43], v[28:29], v[66:67]
	v_fma_f64 v[44:45], v[44:45], v[24:25], -v[68:69]
	v_fma_f64 v[46:47], v[46:47], v[24:25], v[70:71]
	;; [unrolled: 2-line block ×4, first 2 shown]
	v_add_f64 v[64:65], v[48:49], v[40:41]
	v_add_f64 v[70:71], v[50:51], v[42:43]
	v_add_f64 v[66:67], v[40:41], v[44:45]
	v_add_f64 v[68:69], v[42:43], -v[46:47]
	v_add_f64 v[42:43], v[42:43], v[46:47]
	v_add_f64 v[80:81], v[54:55], v[58:59]
	;; [unrolled: 1-line block ×3, first 2 shown]
	v_add_f64 v[78:79], v[58:59], -v[62:63]
	v_add_f64 v[58:59], v[58:59], v[62:63]
	v_add_f64 v[72:73], v[40:41], -v[44:45]
	v_add_f64 v[74:75], v[52:53], v[56:57]
	v_add_f64 v[82:83], v[56:57], -v[60:61]
	v_fma_f64 v[56:57], v[66:67], -0.5, v[48:49]
	v_add_f64 v[40:41], v[64:65], v[44:45]
	v_fma_f64 v[64:65], v[42:43], -0.5, v[50:51]
	v_add_f64 v[42:43], v[70:71], v[46:47]
	v_fma_f64 v[66:67], v[76:77], -0.5, v[52:53]
	v_fma_f64 v[70:71], v[58:59], -0.5, v[54:55]
	v_add_f64 v[44:45], v[74:75], v[60:61]
	v_add_f64 v[46:47], v[80:81], v[62:63]
	v_fma_f64 v[48:49], v[68:69], s[6:7], v[56:57]
	v_fma_f64 v[52:53], v[68:69], s[8:9], v[56:57]
	;; [unrolled: 1-line block ×8, first 2 shown]
	ds_write_b128 v132, v[40:43]
	ds_write_b128 v132, v[48:51] offset:96
	ds_write_b128 v132, v[52:55] offset:192
	ds_write_b128 v133, v[44:47]
	ds_write_b128 v133, v[56:59] offset:96
	ds_write_b128 v133, v[60:63] offset:192
	v_mul_lo_u16_e32 v48, 18, v85
	v_sub_u16_e32 v58, v88, v48
	s_waitcnt lgkmcnt(0)
	s_barrier
	global_load_dwordx4 v[40:43], v87, s[10:11] offset:208
	global_load_dwordx4 v[44:47], v87, s[10:11] offset:192
	v_lshlrev_b16_e32 v48, 5, v58
	v_add_co_u32_e32 v56, vcc, s10, v48
	v_addc_co_u32_e32 v57, vcc, 0, v89, vcc
	global_load_dwordx4 v[52:55], v[56:57], off offset:192
	global_load_dwordx4 v[48:51], v[56:57], off offset:208
	v_mov_b32_e32 v56, 19
	v_mul_lo_u16_sdwa v56, v130, v56 dst_sel:DWORD dst_unused:UNUSED_PAD src0_sel:BYTE_0 src1_sel:DWORD
	v_lshrrev_b16_e32 v102, 10, v56
	v_lshrrev_b16_e32 v56, 1, v88
	v_mul_u32_u24_e32 v56, 0x97b5, v56
	v_mul_u32_u24_e32 v57, 54, v84
	v_mul_lo_u16_e32 v59, 54, v102
	v_lshrrev_b32_e32 v103, 20, v56
	v_sub_u16_e32 v59, v130, v59
	v_mul_lo_u16_e32 v56, 54, v103
	v_add_lshl_u32 v134, v57, v86, 4
	v_mad_legacy_u16 v57, v85, 54, v58
	v_and_b32_e32 v104, 0xff, v59
	v_sub_u16_e32 v106, v88, v56
	v_lshlrev_b32_e32 v135, 4, v57
	ds_read_b128 v[56:59], v129 offset:7776
	ds_read_b128 v[60:63], v129 offset:15552
	ds_read_b128 v[64:67], v129
	ds_read_b128 v[68:71], v129 offset:3888
	ds_read_b128 v[72:75], v129 offset:11664
	;; [unrolled: 1-line block ×3, first 2 shown]
	v_lshlrev_b32_e32 v105, 5, v104
	v_lshlrev_b16_e32 v107, 5, v106
	s_waitcnt vmcnt(0) lgkmcnt(0)
	s_barrier
	v_mul_f64 v[84:85], v[62:63], v[42:43]
	v_mul_f64 v[80:81], v[58:59], v[46:47]
	;; [unrolled: 1-line block ×8, first 2 shown]
	v_fma_f64 v[56:57], v[56:57], v[44:45], -v[80:81]
	v_fma_f64 v[58:59], v[58:59], v[44:45], v[82:83]
	v_fma_f64 v[60:61], v[60:61], v[40:41], -v[84:85]
	v_fma_f64 v[62:63], v[62:63], v[40:41], v[86:87]
	;; [unrolled: 2-line block ×4, first 2 shown]
	v_add_f64 v[80:81], v[64:65], v[56:57]
	v_add_f64 v[86:87], v[66:67], v[58:59]
	;; [unrolled: 1-line block ×3, first 2 shown]
	v_add_f64 v[84:85], v[58:59], -v[62:63]
	v_add_f64 v[58:59], v[58:59], v[62:63]
	v_add_f64 v[98:99], v[70:71], v[74:75]
	;; [unrolled: 1-line block ×3, first 2 shown]
	v_add_f64 v[96:97], v[74:75], -v[78:79]
	v_add_f64 v[74:75], v[74:75], v[78:79]
	v_add_f64 v[90:91], v[56:57], -v[60:61]
	v_add_f64 v[92:93], v[68:69], v[72:73]
	v_add_f64 v[100:101], v[72:73], -v[76:77]
	v_fma_f64 v[72:73], v[82:83], -0.5, v[64:65]
	v_add_f64 v[56:57], v[80:81], v[60:61]
	v_fma_f64 v[80:81], v[58:59], -0.5, v[66:67]
	v_add_f64 v[58:59], v[86:87], v[62:63]
	v_fma_f64 v[82:83], v[94:95], -0.5, v[68:69]
	v_fma_f64 v[86:87], v[74:75], -0.5, v[70:71]
	v_add_f64 v[60:61], v[92:93], v[76:77]
	v_add_f64 v[62:63], v[98:99], v[78:79]
	v_fma_f64 v[64:65], v[84:85], s[6:7], v[72:73]
	v_fma_f64 v[68:69], v[84:85], s[8:9], v[72:73]
	v_fma_f64 v[66:67], v[90:91], s[8:9], v[80:81]
	v_fma_f64 v[70:71], v[90:91], s[6:7], v[80:81]
	v_fma_f64 v[72:73], v[96:97], s[6:7], v[82:83]
	v_fma_f64 v[74:75], v[100:101], s[8:9], v[86:87]
	v_fma_f64 v[76:77], v[96:97], s[8:9], v[82:83]
	v_fma_f64 v[78:79], v[100:101], s[6:7], v[86:87]
	ds_write_b128 v134, v[56:59]
	ds_write_b128 v134, v[64:67] offset:288
	ds_write_b128 v134, v[68:71] offset:576
	ds_write_b128 v135, v[60:63]
	ds_write_b128 v135, v[72:75] offset:288
	ds_write_b128 v135, v[76:79] offset:576
	s_waitcnt lgkmcnt(0)
	s_barrier
	global_load_dwordx4 v[60:63], v105, s[10:11] offset:768
	global_load_dwordx4 v[56:59], v105, s[10:11] offset:784
	v_add_co_u32_e32 v72, vcc, s10, v107
	v_addc_co_u32_e32 v73, vcc, 0, v89, vcc
	global_load_dwordx4 v[68:71], v[72:73], off offset:768
	global_load_dwordx4 v[64:67], v[72:73], off offset:784
	s_movk_i32 s11, 0xa2
	v_add_co_u32_e32 v72, vcc, s13, v130
	v_addc_co_u32_e64 v73, s[14:15], 0, -1, vcc
	v_cmp_gt_u16_e32 vcc, s11, v130
	v_cndmask_b32_e32 v98, v72, v130, vcc
	v_cndmask_b32_e64 v99, v73, 0, vcc
	v_mul_u32_u24_sdwa v74, v88, s16 dst_sel:DWORD dst_unused:UNUSED_PAD src0_sel:WORD_0 src1_sel:DWORD
	v_lshlrev_b64 v[72:73], 5, v[98:99]
	v_lshrrev_b32_e32 v111, 22, v74
	v_mul_u32_u24_e32 v75, 0xa2, v102
	v_mul_lo_u16_e32 v74, 0xa2, v111
	v_add_co_u32_e32 v99, vcc, s10, v72
	v_addc_co_u32_e32 v100, vcc, v89, v73, vcc
	v_sub_u16_e32 v124, v88, v74
	v_add_lshl_u32 v136, v75, v104, 4
	ds_read_b128 v[72:75], v129 offset:7776
	v_mad_legacy_u16 v76, v103, s11, v106
	v_lshlrev_b32_e32 v137, 4, v76
	ds_read_b128 v[76:79], v129 offset:15552
	ds_read_b128 v[80:83], v129 offset:11664
	;; [unrolled: 1-line block ×3, first 2 shown]
	v_lshlrev_b16_e32 v125, 5, v124
	s_movk_i32 s11, 0xa1
	v_lshlrev_b32_e32 v88, 5, v88
	s_movk_i32 s14, 0x1e00
	s_movk_i32 s13, 0x1e6
	s_mov_b32 s15, 0xa000
	s_waitcnt vmcnt(3) lgkmcnt(3)
	v_mul_f64 v[90:91], v[74:75], v[62:63]
	v_mul_f64 v[92:93], v[72:73], v[62:63]
	s_waitcnt vmcnt(2) lgkmcnt(2)
	v_mul_f64 v[94:95], v[78:79], v[58:59]
	v_mul_f64 v[96:97], v[76:77], v[58:59]
	;; [unrolled: 3-line block ×4, first 2 shown]
	v_fma_f64 v[90:91], v[72:73], v[60:61], -v[90:91]
	v_fma_f64 v[92:93], v[74:75], v[60:61], v[92:93]
	v_fma_f64 v[94:95], v[76:77], v[56:57], -v[94:95]
	v_fma_f64 v[96:97], v[78:79], v[56:57], v[96:97]
	;; [unrolled: 2-line block ×4, first 2 shown]
	ds_read_b128 v[72:75], v129
	ds_read_b128 v[76:79], v129 offset:3888
	s_waitcnt lgkmcnt(0)
	v_add_f64 v[101:102], v[90:91], v[94:95]
	v_add_f64 v[103:104], v[92:93], v[96:97]
	;; [unrolled: 1-line block ×8, first 2 shown]
	v_add_f64 v[92:93], v[92:93], -v[96:97]
	v_add_f64 v[90:91], v[90:91], -v[94:95]
	;; [unrolled: 1-line block ×3, first 2 shown]
	v_fma_f64 v[82:83], v[101:102], -0.5, v[72:73]
	v_fma_f64 v[101:102], v[103:104], -0.5, v[74:75]
	v_add_f64 v[122:123], v[80:81], -v[84:85]
	v_fma_f64 v[103:104], v[107:108], -0.5, v[76:77]
	v_fma_f64 v[107:108], v[114:115], -0.5, v[78:79]
	v_add_f64 v[74:75], v[109:110], v[96:97]
	v_add_f64 v[72:73], v[105:106], v[94:95]
	v_add_f64 v[76:77], v[116:117], v[84:85]
	v_fma_f64 v[80:81], v[92:93], s[6:7], v[82:83]
	v_fma_f64 v[84:85], v[92:93], s[8:9], v[82:83]
	;; [unrolled: 1-line block ×3, first 2 shown]
	v_add_f64 v[78:79], v[118:119], v[86:87]
	v_fma_f64 v[86:87], v[90:91], s[6:7], v[101:102]
	v_fma_f64 v[90:91], v[120:121], s[6:7], v[103:104]
	;; [unrolled: 1-line block ×5, first 2 shown]
	s_barrier
	ds_write_b128 v136, v[72:75]
	ds_write_b128 v136, v[80:83] offset:864
	ds_write_b128 v136, v[84:87] offset:1728
	ds_write_b128 v137, v[76:79]
	ds_write_b128 v137, v[90:93] offset:864
	ds_write_b128 v137, v[94:97] offset:1728
	s_waitcnt lgkmcnt(0)
	s_barrier
	global_load_dwordx4 v[76:79], v[99:100], off offset:2496
	global_load_dwordx4 v[72:75], v[99:100], off offset:2512
	v_add_co_u32_e32 v90, vcc, s10, v125
	v_addc_co_u32_e32 v91, vcc, 0, v89, vcc
	global_load_dwordx4 v[80:83], v[90:91], off offset:2496
	global_load_dwordx4 v[84:87], v[90:91], off offset:2512
	v_mov_b32_e32 v90, 0x1e6
	v_cmp_lt_u16_e32 vcc, s11, v130
	v_cndmask_b32_e32 v90, 0, v90, vcc
	v_lshlrev_b32_e32 v91, 5, v130
	v_add_lshl_u32 v138, v98, v90, 4
	v_add_co_u32_e32 v90, vcc, s10, v91
	v_addc_co_u32_e32 v91, vcc, 0, v89, vcc
	v_add_co_u32_e32 v152, vcc, s10, v88
	v_addc_co_u32_e32 v153, vcc, 0, v89, vcc
	;; [unrolled: 2-line block ×4, first 2 shown]
	ds_read_b128 v[88:91], v129 offset:7776
	v_mad_legacy_u16 v92, v111, s13, v124
	v_lshlrev_b32_e32 v139, 4, v92
	ds_read_b128 v[92:95], v129 offset:15552
	ds_read_b128 v[96:99], v129 offset:11664
	;; [unrolled: 1-line block ×3, first 2 shown]
	v_add_co_u32_e32 v118, vcc, s12, v152
	v_addc_co_u32_e32 v119, vcc, 0, v153, vcc
	s_movk_i32 s10, 0x5000
	s_movk_i32 s11, 0x5b20
	;; [unrolled: 1-line block ×3, first 2 shown]
	s_mov_b32 s13, 0x8000
	s_waitcnt vmcnt(3) lgkmcnt(3)
	v_mul_f64 v[104:105], v[90:91], v[78:79]
	v_mul_f64 v[106:107], v[88:89], v[78:79]
	s_waitcnt vmcnt(2) lgkmcnt(2)
	v_mul_f64 v[108:109], v[94:95], v[74:75]
	v_mul_f64 v[110:111], v[92:93], v[74:75]
	;; [unrolled: 3-line block ×4, first 2 shown]
	v_fma_f64 v[104:105], v[88:89], v[76:77], -v[104:105]
	v_fma_f64 v[106:107], v[90:91], v[76:77], v[106:107]
	v_fma_f64 v[108:109], v[92:93], v[72:73], -v[108:109]
	v_fma_f64 v[110:111], v[94:95], v[72:73], v[110:111]
	;; [unrolled: 2-line block ×4, first 2 shown]
	ds_read_b128 v[88:91], v129
	ds_read_b128 v[92:95], v129 offset:3888
	s_waitcnt lgkmcnt(0)
	v_add_f64 v[120:121], v[104:105], v[108:109]
	v_add_f64 v[122:123], v[106:107], v[110:111]
	;; [unrolled: 1-line block ×6, first 2 shown]
	v_add_f64 v[106:107], v[106:107], -v[110:111]
	v_add_f64 v[104:105], v[104:105], -v[108:109]
	v_add_f64 v[144:145], v[94:95], v[98:99]
	v_add_f64 v[146:147], v[92:93], v[96:97]
	v_add_f64 v[148:149], v[98:99], -v[102:103]
	v_fma_f64 v[98:99], v[120:121], -0.5, v[88:89]
	v_fma_f64 v[120:121], v[122:123], -0.5, v[90:91]
	v_add_f64 v[150:151], v[96:97], -v[100:101]
	v_add_f64 v[90:91], v[124:125], v[110:111]
	v_add_f64 v[88:89], v[126:127], v[108:109]
	v_fma_f64 v[108:109], v[140:141], -0.5, v[92:93]
	v_fma_f64 v[110:111], v[142:143], -0.5, v[94:95]
	v_add_f64 v[92:93], v[146:147], v[100:101]
	v_fma_f64 v[96:97], v[106:107], s[6:7], v[98:99]
	v_fma_f64 v[100:101], v[106:107], s[8:9], v[98:99]
	;; [unrolled: 1-line block ×3, first 2 shown]
	v_add_f64 v[94:95], v[144:145], v[102:103]
	v_fma_f64 v[102:103], v[104:105], s[6:7], v[120:121]
	v_fma_f64 v[104:105], v[148:149], s[6:7], v[108:109]
	;; [unrolled: 1-line block ×5, first 2 shown]
	s_barrier
	ds_write_b128 v138, v[88:91]
	ds_write_b128 v138, v[96:99] offset:2592
	ds_write_b128 v138, v[100:103] offset:5184
	ds_write_b128 v139, v[92:95]
	ds_write_b128 v139, v[104:107] offset:2592
	ds_write_b128 v139, v[108:111] offset:5184
	v_add_co_u32_e32 v100, vcc, s14, v152
	s_waitcnt lgkmcnt(0)
	s_barrier
	global_load_dwordx4 v[96:99], v[114:115], off offset:3584
	global_load_dwordx4 v[92:95], v[116:117], off offset:16
	;; [unrolled: 1-line block ×3, first 2 shown]
	v_addc_co_u32_e32 v101, vcc, 0, v153, vcc
	global_load_dwordx4 v[100:103], v[100:101], off offset:16
	ds_read_b128 v[104:107], v129 offset:7776
	ds_read_b128 v[108:111], v129 offset:15552
	;; [unrolled: 1-line block ×4, first 2 shown]
	v_add_co_u32_e32 v126, vcc, s10, v112
	v_addc_co_u32_e32 v127, vcc, 0, v113, vcc
	v_add_co_u32_e32 v144, vcc, s11, v112
	v_addc_co_u32_e32 v145, vcc, 0, v113, vcc
	;; [unrolled: 2-line block ×3, first 2 shown]
	s_mov_b32 s14, 0x9000
	s_load_dwordx2 s[10:11], s[4:5], 0x38
	s_mov_b32 s4, 0xe0bf08c7
	s_mov_b32 s5, 0x3f467980
	s_waitcnt vmcnt(3) lgkmcnt(0)
	v_mul_f64 v[122:123], v[106:107], v[98:99]
	v_mul_f64 v[124:125], v[104:105], v[98:99]
	s_waitcnt vmcnt(2)
	v_mul_f64 v[140:141], v[110:111], v[94:95]
	v_mul_f64 v[142:143], v[108:109], v[94:95]
	s_waitcnt vmcnt(1)
	;; [unrolled: 3-line block ×3, first 2 shown]
	v_mul_f64 v[152:153], v[120:121], v[102:103]
	v_mul_f64 v[154:155], v[118:119], v[102:103]
	v_fma_f64 v[122:123], v[104:105], v[96:97], -v[122:123]
	v_fma_f64 v[124:125], v[106:107], v[96:97], v[124:125]
	v_fma_f64 v[140:141], v[108:109], v[92:93], -v[140:141]
	v_fma_f64 v[142:143], v[110:111], v[92:93], v[142:143]
	;; [unrolled: 2-line block ×4, first 2 shown]
	ds_read_b128 v[104:107], v129
	ds_read_b128 v[108:111], v129 offset:3888
	v_add_f64 v[148:149], v[122:123], v[140:141]
	v_add_f64 v[150:151], v[124:125], v[142:143]
	s_waitcnt lgkmcnt(1)
	v_add_f64 v[152:153], v[106:107], v[124:125]
	v_add_f64 v[154:155], v[104:105], v[122:123]
	;; [unrolled: 1-line block ×4, first 2 shown]
	s_waitcnt lgkmcnt(0)
	v_add_f64 v[160:161], v[110:111], v[116:117]
	v_add_f64 v[162:163], v[108:109], v[114:115]
	v_add_f64 v[124:125], v[124:125], -v[142:143]
	v_add_f64 v[122:123], v[122:123], -v[140:141]
	v_add_f64 v[164:165], v[116:117], -v[120:121]
	v_fma_f64 v[116:117], v[148:149], -0.5, v[104:105]
	v_fma_f64 v[148:149], v[150:151], -0.5, v[106:107]
	v_add_f64 v[166:167], v[114:115], -v[118:119]
	v_add_f64 v[106:107], v[152:153], v[142:143]
	v_add_f64 v[104:105], v[154:155], v[140:141]
	v_fma_f64 v[140:141], v[156:157], -0.5, v[108:109]
	v_fma_f64 v[142:143], v[158:159], -0.5, v[110:111]
	v_add_f64 v[110:111], v[160:161], v[120:121]
	v_add_f64 v[108:109], v[162:163], v[118:119]
	v_fma_f64 v[114:115], v[124:125], s[6:7], v[116:117]
	v_fma_f64 v[118:119], v[124:125], s[8:9], v[116:117]
	;; [unrolled: 1-line block ×8, first 2 shown]
	v_add_co_u32_e32 v148, vcc, s13, v112
	v_addc_co_u32_e32 v149, vcc, 0, v113, vcc
	ds_write_b128 v129, v[104:107]
	ds_write_b128 v129, v[108:111] offset:3888
	ds_write_b128 v129, v[114:117] offset:7776
	;; [unrolled: 1-line block ×5, first 2 shown]
	s_waitcnt lgkmcnt(0)
	s_barrier
	global_load_dwordx4 v[116:119], v[126:127], off offset:2848
	v_add_co_u32_e32 v104, vcc, s14, v112
	v_addc_co_u32_e32 v105, vcc, 0, v113, vcc
	v_add_co_u32_e32 v112, vcc, s15, v112
	global_load_dwordx4 v[124:127], v[144:145], off offset:3888
	global_load_dwordx4 v[120:123], v[146:147], off offset:2432
	;; [unrolled: 1-line block ×3, first 2 shown]
	s_nop 0
	global_load_dwordx4 v[104:107], v[104:105], off offset:2016
	v_addc_co_u32_e32 v113, vcc, 0, v113, vcc
	global_load_dwordx4 v[112:115], v[112:113], off offset:1808
	v_mad_u64_u32 v[168:169], s[12:13], s2, v128, 0
	v_mad_u64_u32 v[170:171], s[12:13], s0, v130, 0
	v_mov_b32_e32 v144, v169
	v_mov_b32_e32 v143, s11
	;; [unrolled: 1-line block ×3, first 2 shown]
	v_mad_u64_u32 v[171:172], s[12:13], s3, v128, v[144:145]
	v_mad_u64_u32 v[172:173], s[12:13], s1, v130, v[145:146]
	ds_read_b128 v[144:147], v129
	ds_read_b128 v[148:151], v129 offset:3888
	ds_read_b128 v[152:155], v129 offset:7776
	;; [unrolled: 1-line block ×5, first 2 shown]
	v_mov_b32_e32 v169, v171
	v_mov_b32_e32 v171, v172
	s_mul_i32 s2, s1, 0xf30
	s_mul_hi_u32 s11, s0, 0xf30
	s_mulk_i32 s0, 0xf30
	s_add_i32 s2, s11, s2
	v_mov_b32_e32 v142, s2
	v_mov_b32_e32 v140, s2
	;; [unrolled: 1-line block ×3, first 2 shown]
	s_waitcnt vmcnt(5) lgkmcnt(5)
	v_mul_f64 v[173:174], v[146:147], v[118:119]
	v_mul_f64 v[118:119], v[144:145], v[118:119]
	s_waitcnt vmcnt(4) lgkmcnt(4)
	v_mul_f64 v[175:176], v[150:151], v[126:127]
	v_mul_f64 v[126:127], v[148:149], v[126:127]
	;; [unrolled: 3-line block ×6, first 2 shown]
	v_fma_f64 v[114:115], v[144:145], v[116:117], -v[173:174]
	v_fma_f64 v[116:117], v[146:147], v[116:117], v[118:119]
	v_fma_f64 v[122:123], v[148:149], v[124:125], -v[175:176]
	v_fma_f64 v[124:125], v[150:151], v[124:125], v[126:127]
	v_fma_f64 v[118:119], v[152:153], v[120:121], -v[177:178]
	v_fma_f64 v[120:121], v[154:155], v[120:121], v[179:180]
	v_fma_f64 v[106:107], v[156:157], v[108:109], -v[181:182]
	v_fma_f64 v[108:109], v[158:159], v[108:109], v[110:111]
	v_fma_f64 v[144:145], v[160:161], v[104:105], -v[183:184]
	v_fma_f64 v[146:147], v[162:163], v[104:105], v[185:186]
	v_fma_f64 v[110:111], v[164:165], v[112:113], -v[187:188]
	v_fma_f64 v[112:113], v[166:167], v[112:113], v[189:190]
	ds_write_b128 v129, v[114:117]
	ds_write_b128 v129, v[122:125] offset:3888
	ds_write_b128 v129, v[118:121] offset:7776
	;; [unrolled: 1-line block ×5, first 2 shown]
	s_waitcnt lgkmcnt(0)
	s_barrier
	ds_read_b128 v[104:107], v129 offset:7776
	ds_read_b128 v[108:111], v129 offset:11664
	;; [unrolled: 1-line block ×4, first 2 shown]
	ds_read_b128 v[120:123], v129
	ds_read_b128 v[124:127], v129 offset:3888
	s_waitcnt lgkmcnt(0)
	v_add_f64 v[152:153], v[104:105], v[112:113]
	v_add_f64 v[146:147], v[110:111], v[118:119]
	v_add_f64 v[148:149], v[120:121], v[104:105]
	v_add_f64 v[156:157], v[124:125], v[108:109]
	v_add_f64 v[158:159], v[108:109], v[116:117]
	v_add_f64 v[108:109], v[108:109], -v[116:117]
	v_add_f64 v[150:151], v[122:123], v[106:107]
	v_add_f64 v[154:155], v[106:107], -v[114:115]
	v_add_f64 v[106:107], v[106:107], v[114:115]
	v_fma_f64 v[146:147], v[146:147], -0.5, v[126:127]
	v_add_f64 v[126:127], v[126:127], v[110:111]
	v_add_f64 v[160:161], v[104:105], -v[112:113]
	v_add_f64 v[110:111], v[110:111], -v[118:119]
	v_add_f64 v[112:113], v[148:149], v[112:113]
	v_fma_f64 v[124:125], v[158:159], -0.5, v[124:125]
	v_fma_f64 v[120:121], v[152:153], -0.5, v[120:121]
	;; [unrolled: 1-line block ×3, first 2 shown]
	v_fma_f64 v[148:149], v[108:109], s[6:7], v[146:147]
	v_fma_f64 v[108:109], v[108:109], s[8:9], v[146:147]
	v_add_f64 v[118:119], v[126:127], v[118:119]
	v_add_f64 v[116:117], v[156:157], v[116:117]
	;; [unrolled: 1-line block ×3, first 2 shown]
	v_fma_f64 v[126:127], v[110:111], s[8:9], v[124:125]
	v_fma_f64 v[110:111], v[110:111], s[6:7], v[124:125]
	;; [unrolled: 1-line block ×3, first 2 shown]
	v_mul_f64 v[146:147], v[148:149], s[8:9]
	v_mul_f64 v[148:149], v[148:149], 0.5
	v_mul_f64 v[124:125], v[108:109], s[8:9]
	v_mul_f64 v[108:109], v[108:109], -0.5
	v_fma_f64 v[152:153], v[160:161], s[6:7], v[122:123]
	v_add_f64 v[104:105], v[112:113], v[116:117]
	v_add_f64 v[106:107], v[114:115], v[118:119]
	s_barrier
	v_fma_f64 v[146:147], v[126:127], 0.5, v[146:147]
	v_fma_f64 v[126:127], v[126:127], s[6:7], v[148:149]
	v_fma_f64 v[148:149], v[154:155], s[6:7], v[120:121]
	;; [unrolled: 1-line block ×3, first 2 shown]
	v_fma_f64 v[124:125], v[110:111], -0.5, v[124:125]
	v_fma_f64 v[156:157], v[110:111], s[6:7], v[108:109]
	v_add_f64 v[108:109], v[112:113], -v[116:117]
	v_add_f64 v[110:111], v[114:115], -v[118:119]
	v_add_f64 v[112:113], v[150:151], v[146:147]
	v_add_f64 v[114:115], v[152:153], v[126:127]
	v_add_f64 v[116:117], v[150:151], -v[146:147]
	v_add_f64 v[118:119], v[152:153], -v[126:127]
	v_add_f64 v[120:121], v[148:149], v[124:125]
	v_add_f64 v[122:123], v[154:155], v[156:157]
	v_add_f64 v[124:125], v[148:149], -v[124:125]
	v_add_f64 v[126:127], v[154:155], -v[156:157]
	ds_write_b128 v131, v[104:107]
	ds_write_b128 v131, v[108:111] offset:48
	ds_write_b128 v131, v[112:115] offset:16
	;; [unrolled: 1-line block ×5, first 2 shown]
	s_waitcnt lgkmcnt(0)
	s_barrier
	ds_read_b128 v[104:107], v129 offset:7776
	ds_read_b128 v[108:111], v129 offset:15552
	;; [unrolled: 1-line block ×4, first 2 shown]
	v_lshlrev_b64 v[144:145], 4, v[168:169]
	v_lshlrev_b64 v[120:121], 4, v[170:171]
	s_waitcnt lgkmcnt(2)
	v_mul_f64 v[124:125], v[26:27], v[110:111]
	v_mul_f64 v[122:123], v[30:31], v[106:107]
	;; [unrolled: 1-line block ×4, first 2 shown]
	s_waitcnt lgkmcnt(1)
	v_mul_f64 v[126:127], v[38:39], v[114:115]
	v_mul_f64 v[38:39], v[38:39], v[112:113]
	s_waitcnt lgkmcnt(0)
	v_mul_f64 v[130:131], v[34:35], v[118:119]
	v_mul_f64 v[34:35], v[34:35], v[116:117]
	v_fma_f64 v[108:109], v[24:25], v[108:109], v[124:125]
	v_fma_f64 v[104:105], v[28:29], v[104:105], v[122:123]
	v_fma_f64 v[106:107], v[28:29], v[106:107], -v[30:31]
	v_fma_f64 v[110:111], v[24:25], v[110:111], -v[26:27]
	v_fma_f64 v[112:113], v[36:37], v[112:113], v[126:127]
	v_fma_f64 v[36:37], v[36:37], v[114:115], -v[38:39]
	v_fma_f64 v[38:39], v[32:33], v[116:117], v[130:131]
	v_fma_f64 v[32:33], v[32:33], v[118:119], -v[34:35]
	ds_read_b128 v[24:27], v129
	ds_read_b128 v[28:31], v129 offset:3888
	v_add_f64 v[34:35], v[104:105], v[108:109]
	s_waitcnt lgkmcnt(0)
	v_add_f64 v[114:115], v[106:107], v[110:111]
	v_add_f64 v[116:117], v[26:27], v[106:107]
	;; [unrolled: 1-line block ×5, first 2 shown]
	v_add_f64 v[106:107], v[106:107], -v[110:111]
	v_add_f64 v[104:105], v[104:105], -v[108:109]
	v_add_f64 v[126:127], v[30:31], v[36:37]
	v_fma_f64 v[34:35], v[34:35], -0.5, v[24:25]
	v_fma_f64 v[114:115], v[114:115], -0.5, v[26:27]
	v_add_f64 v[130:131], v[28:29], v[112:113]
	v_add_f64 v[146:147], v[36:37], -v[32:33]
	v_add_f64 v[112:113], v[112:113], -v[38:39]
	v_add_f64 v[26:27], v[116:117], v[110:111]
	v_add_f64 v[24:25], v[118:119], v[108:109]
	v_fma_f64 v[108:109], v[122:123], -0.5, v[28:29]
	v_fma_f64 v[110:111], v[124:125], -0.5, v[30:31]
	v_add_f64 v[30:31], v[126:127], v[32:33]
	v_fma_f64 v[32:33], v[106:107], s[8:9], v[34:35]
	v_fma_f64 v[36:37], v[106:107], s[6:7], v[34:35]
	;; [unrolled: 1-line block ×3, first 2 shown]
	v_add_f64 v[28:29], v[130:131], v[38:39]
	v_fma_f64 v[38:39], v[104:105], s[8:9], v[114:115]
	v_fma_f64 v[104:105], v[146:147], s[8:9], v[108:109]
	;; [unrolled: 1-line block ×5, first 2 shown]
	s_barrier
	ds_write_b128 v132, v[24:27]
	ds_write_b128 v132, v[32:35] offset:96
	ds_write_b128 v132, v[36:39] offset:192
	ds_write_b128 v133, v[28:31]
	ds_write_b128 v133, v[104:107] offset:96
	ds_write_b128 v133, v[108:111] offset:192
	s_waitcnt lgkmcnt(0)
	s_barrier
	ds_read_b128 v[24:27], v129 offset:7776
	ds_read_b128 v[28:31], v129 offset:15552
	;; [unrolled: 1-line block ×4, first 2 shown]
	v_add_co_u32_e32 v112, vcc, s10, v144
	s_waitcnt lgkmcnt(2)
	v_mul_f64 v[106:107], v[42:43], v[30:31]
	v_mul_f64 v[104:105], v[46:47], v[26:27]
	;; [unrolled: 1-line block ×4, first 2 shown]
	s_waitcnt lgkmcnt(1)
	v_mul_f64 v[108:109], v[54:55], v[34:35]
	v_mul_f64 v[54:55], v[54:55], v[32:33]
	s_waitcnt lgkmcnt(0)
	v_mul_f64 v[110:111], v[50:51], v[38:39]
	v_mul_f64 v[50:51], v[50:51], v[36:37]
	v_addc_co_u32_e32 v113, vcc, v143, v145, vcc
	v_fma_f64 v[104:105], v[44:45], v[24:25], v[104:105]
	v_fma_f64 v[44:45], v[44:45], v[26:27], -v[46:47]
	v_fma_f64 v[46:47], v[40:41], v[28:29], v[106:107]
	v_fma_f64 v[40:41], v[40:41], v[30:31], -v[42:43]
	;; [unrolled: 2-line block ×4, first 2 shown]
	ds_read_b128 v[24:27], v129
	ds_read_b128 v[28:31], v129 offset:3888
	v_add_co_u32_e32 v48, vcc, v112, v120
	v_add_f64 v[42:43], v[104:105], v[46:47]
	v_add_f64 v[50:51], v[44:45], v[40:41]
	s_waitcnt lgkmcnt(1)
	v_add_f64 v[106:107], v[24:25], v[104:105]
	v_add_f64 v[52:53], v[32:33], v[36:37]
	v_add_f64 v[54:55], v[34:35], v[38:39]
	v_add_f64 v[108:109], v[26:27], v[44:45]
	v_addc_co_u32_e32 v49, vcc, v113, v121, vcc
	s_waitcnt lgkmcnt(0)
	v_add_f64 v[110:111], v[28:29], v[32:33]
	v_add_f64 v[112:113], v[30:31], v[34:35]
	v_add_f64 v[44:45], v[44:45], -v[40:41]
	v_add_f64 v[104:105], v[104:105], -v[46:47]
	;; [unrolled: 1-line block ×3, first 2 shown]
	v_fma_f64 v[34:35], v[42:43], -0.5, v[24:25]
	v_fma_f64 v[42:43], v[50:51], -0.5, v[26:27]
	v_add_f64 v[116:117], v[32:33], -v[36:37]
	v_fma_f64 v[50:51], v[52:53], -0.5, v[28:29]
	v_fma_f64 v[52:53], v[54:55], -0.5, v[30:31]
	v_add_f64 v[26:27], v[108:109], v[40:41]
	v_add_f64 v[24:25], v[106:107], v[46:47]
	v_add_f64 v[28:29], v[110:111], v[36:37]
	v_fma_f64 v[32:33], v[44:45], s[8:9], v[34:35]
	v_fma_f64 v[36:37], v[44:45], s[6:7], v[34:35]
	v_fma_f64 v[34:35], v[104:105], s[6:7], v[42:43]
	v_add_f64 v[30:31], v[112:113], v[38:39]
	v_fma_f64 v[38:39], v[104:105], s[8:9], v[42:43]
	v_fma_f64 v[40:41], v[114:115], s[8:9], v[50:51]
	v_fma_f64 v[42:43], v[116:117], s[6:7], v[52:53]
	v_fma_f64 v[44:45], v[114:115], s[6:7], v[50:51]
	v_fma_f64 v[46:47], v[116:117], s[8:9], v[52:53]
	s_barrier
	ds_write_b128 v134, v[24:27]
	ds_write_b128 v134, v[32:35] offset:288
	ds_write_b128 v134, v[36:39] offset:576
	ds_write_b128 v135, v[28:31]
	ds_write_b128 v135, v[40:43] offset:288
	ds_write_b128 v135, v[44:47] offset:576
	s_waitcnt lgkmcnt(0)
	s_barrier
	ds_read_b128 v[24:27], v129 offset:7776
	ds_read_b128 v[28:31], v129 offset:11664
	;; [unrolled: 1-line block ×4, first 2 shown]
	ds_read_b128 v[40:43], v129
	ds_read_b128 v[44:47], v129 offset:3888
	s_waitcnt lgkmcnt(5)
	v_mul_f64 v[50:51], v[62:63], v[26:27]
	v_mul_f64 v[52:53], v[62:63], v[24:25]
	s_waitcnt lgkmcnt(3)
	v_mul_f64 v[54:55], v[58:59], v[34:35]
	v_mul_f64 v[58:59], v[58:59], v[32:33]
	;; [unrolled: 1-line block ×4, first 2 shown]
	s_waitcnt lgkmcnt(2)
	v_mul_f64 v[104:105], v[66:67], v[38:39]
	v_mul_f64 v[66:67], v[66:67], v[36:37]
	v_fma_f64 v[24:25], v[60:61], v[24:25], v[50:51]
	v_fma_f64 v[26:27], v[60:61], v[26:27], -v[52:53]
	v_fma_f64 v[32:33], v[56:57], v[32:33], v[54:55]
	v_fma_f64 v[34:35], v[56:57], v[34:35], -v[58:59]
	;; [unrolled: 2-line block ×4, first 2 shown]
	s_waitcnt lgkmcnt(1)
	v_add_f64 v[50:51], v[40:41], v[24:25]
	v_add_f64 v[56:57], v[42:43], v[26:27]
	v_add_f64 v[52:53], v[24:25], v[32:33]
	v_add_f64 v[54:55], v[26:27], -v[34:35]
	v_add_f64 v[26:27], v[26:27], v[34:35]
	s_waitcnt lgkmcnt(0)
	v_add_f64 v[66:67], v[46:47], v[30:31]
	v_add_f64 v[62:63], v[28:29], v[36:37]
	v_add_f64 v[64:65], v[30:31], -v[38:39]
	v_add_f64 v[30:31], v[30:31], v[38:39]
	v_add_f64 v[58:59], v[24:25], -v[32:33]
	v_fma_f64 v[40:41], v[52:53], -0.5, v[40:41]
	v_add_f64 v[60:61], v[44:45], v[28:29]
	v_fma_f64 v[42:43], v[26:27], -0.5, v[42:43]
	v_add_f64 v[68:69], v[28:29], -v[36:37]
	v_fma_f64 v[44:45], v[62:63], -0.5, v[44:45]
	v_add_f64 v[24:25], v[50:51], v[32:33]
	v_fma_f64 v[46:47], v[30:31], -0.5, v[46:47]
	v_add_f64 v[26:27], v[56:57], v[34:35]
	v_fma_f64 v[32:33], v[54:55], s[8:9], v[40:41]
	v_add_f64 v[28:29], v[60:61], v[36:37]
	v_fma_f64 v[34:35], v[58:59], s[6:7], v[42:43]
	;; [unrolled: 2-line block ×3, first 2 shown]
	v_fma_f64 v[38:39], v[58:59], s[8:9], v[42:43]
	v_fma_f64 v[40:41], v[64:65], s[8:9], v[44:45]
	;; [unrolled: 1-line block ×5, first 2 shown]
	s_barrier
	ds_write_b128 v136, v[24:27]
	ds_write_b128 v136, v[32:35] offset:864
	ds_write_b128 v136, v[36:39] offset:1728
	ds_write_b128 v137, v[28:31]
	ds_write_b128 v137, v[40:43] offset:864
	ds_write_b128 v137, v[44:47] offset:1728
	s_waitcnt lgkmcnt(0)
	s_barrier
	ds_read_b128 v[24:27], v129 offset:7776
	ds_read_b128 v[28:31], v129 offset:15552
	ds_read_b128 v[32:35], v129
	ds_read_b128 v[36:39], v129 offset:3888
	ds_read_b128 v[40:43], v129 offset:11664
	;; [unrolled: 1-line block ×3, first 2 shown]
	s_waitcnt lgkmcnt(5)
	v_mul_f64 v[50:51], v[78:79], v[26:27]
	v_mul_f64 v[52:53], v[78:79], v[24:25]
	s_waitcnt lgkmcnt(4)
	v_mul_f64 v[54:55], v[74:75], v[30:31]
	v_mul_f64 v[56:57], v[74:75], v[28:29]
	;; [unrolled: 3-line block ×4, first 2 shown]
	v_fma_f64 v[24:25], v[76:77], v[24:25], v[50:51]
	v_fma_f64 v[26:27], v[76:77], v[26:27], -v[52:53]
	v_fma_f64 v[28:29], v[72:73], v[28:29], v[54:55]
	v_fma_f64 v[30:31], v[72:73], v[30:31], -v[56:57]
	;; [unrolled: 2-line block ×4, first 2 shown]
	v_add_f64 v[50:51], v[32:33], v[24:25]
	v_add_f64 v[56:57], v[34:35], v[26:27]
	;; [unrolled: 1-line block ×3, first 2 shown]
	v_add_f64 v[54:55], v[26:27], -v[30:31]
	v_add_f64 v[26:27], v[26:27], v[30:31]
	v_add_f64 v[66:67], v[38:39], v[42:43]
	;; [unrolled: 1-line block ×3, first 2 shown]
	v_add_f64 v[64:65], v[42:43], -v[46:47]
	v_add_f64 v[42:43], v[42:43], v[46:47]
	v_add_f64 v[58:59], v[24:25], -v[28:29]
	v_add_f64 v[60:61], v[36:37], v[40:41]
	v_add_f64 v[68:69], v[40:41], -v[44:45]
	v_fma_f64 v[40:41], v[52:53], -0.5, v[32:33]
	v_add_f64 v[24:25], v[50:51], v[28:29]
	v_fma_f64 v[50:51], v[26:27], -0.5, v[34:35]
	v_add_f64 v[26:27], v[56:57], v[30:31]
	v_fma_f64 v[52:53], v[62:63], -0.5, v[36:37]
	v_fma_f64 v[56:57], v[42:43], -0.5, v[38:39]
	v_add_f64 v[28:29], v[60:61], v[44:45]
	v_add_f64 v[30:31], v[66:67], v[46:47]
	v_fma_f64 v[32:33], v[54:55], s[8:9], v[40:41]
	v_fma_f64 v[36:37], v[54:55], s[6:7], v[40:41]
	v_fma_f64 v[34:35], v[58:59], s[6:7], v[50:51]
	v_fma_f64 v[38:39], v[58:59], s[8:9], v[50:51]
	v_fma_f64 v[40:41], v[64:65], s[8:9], v[52:53]
	v_fma_f64 v[42:43], v[68:69], s[6:7], v[56:57]
	v_fma_f64 v[44:45], v[64:65], s[6:7], v[52:53]
	v_fma_f64 v[46:47], v[68:69], s[8:9], v[56:57]
	s_barrier
	ds_write_b128 v138, v[24:27]
	ds_write_b128 v138, v[32:35] offset:2592
	ds_write_b128 v138, v[36:39] offset:5184
	ds_write_b128 v139, v[28:31]
	ds_write_b128 v139, v[40:43] offset:2592
	ds_write_b128 v139, v[44:47] offset:5184
	s_waitcnt lgkmcnt(0)
	s_barrier
	ds_read_b128 v[24:27], v129 offset:7776
	ds_read_b128 v[28:31], v129 offset:15552
	;; [unrolled: 1-line block ×4, first 2 shown]
	v_add_co_u32_e32 v50, vcc, s0, v48
	s_waitcnt lgkmcnt(2)
	v_mul_f64 v[44:45], v[94:95], v[30:31]
	v_mul_f64 v[40:41], v[98:99], v[26:27]
	;; [unrolled: 1-line block ×4, first 2 shown]
	s_waitcnt lgkmcnt(1)
	v_mul_f64 v[52:53], v[90:91], v[34:35]
	v_mul_f64 v[54:55], v[90:91], v[32:33]
	s_waitcnt lgkmcnt(0)
	v_mul_f64 v[56:57], v[102:103], v[38:39]
	v_mul_f64 v[58:59], v[102:103], v[36:37]
	v_fma_f64 v[44:45], v[92:93], v[28:29], v[44:45]
	v_fma_f64 v[40:41], v[96:97], v[24:25], v[40:41]
	v_fma_f64 v[42:43], v[96:97], v[26:27], -v[42:43]
	v_fma_f64 v[46:47], v[92:93], v[30:31], -v[46:47]
	v_fma_f64 v[32:33], v[88:89], v[32:33], v[52:53]
	v_fma_f64 v[34:35], v[88:89], v[34:35], -v[54:55]
	v_fma_f64 v[36:37], v[100:101], v[36:37], v[56:57]
	v_fma_f64 v[38:39], v[100:101], v[38:39], -v[58:59]
	ds_read_b128 v[24:27], v129
	ds_read_b128 v[28:31], v129 offset:3888
	v_add_f64 v[54:55], v[40:41], v[44:45]
	v_addc_co_u32_e32 v51, vcc, v49, v142, vcc
	v_add_f64 v[56:57], v[42:43], -v[46:47]
	s_waitcnt lgkmcnt(1)
	v_add_f64 v[58:59], v[26:27], v[42:43]
	v_add_f64 v[42:43], v[42:43], v[46:47]
	;; [unrolled: 1-line block ×4, first 2 shown]
	v_add_f64 v[64:65], v[34:35], -v[38:39]
	s_waitcnt lgkmcnt(0)
	v_add_f64 v[66:67], v[30:31], v[34:35]
	v_add_f64 v[34:35], v[34:35], v[38:39]
	;; [unrolled: 1-line block ×3, first 2 shown]
	v_add_f64 v[40:41], v[40:41], -v[44:45]
	v_fma_f64 v[54:55], v[54:55], -0.5, v[24:25]
	v_fma_f64 v[42:43], v[42:43], -0.5, v[26:27]
	v_add_f64 v[68:69], v[32:33], -v[36:37]
	v_add_f64 v[24:25], v[52:53], v[44:45]
	v_add_f64 v[26:27], v[58:59], v[46:47]
	v_fma_f64 v[44:45], v[62:63], -0.5, v[28:29]
	v_fma_f64 v[46:47], v[34:35], -0.5, v[30:31]
	v_add_f64 v[28:29], v[60:61], v[36:37]
	v_add_f64 v[30:31], v[66:67], v[38:39]
	v_fma_f64 v[32:33], v[56:57], s[8:9], v[54:55]
	v_fma_f64 v[34:35], v[40:41], s[6:7], v[42:43]
	;; [unrolled: 1-line block ×8, first 2 shown]
	ds_write_b128 v129, v[24:27]
	ds_write_b128 v129, v[28:31] offset:3888
	ds_write_b128 v129, v[32:35] offset:7776
	ds_write_b128 v129, v[36:39] offset:15552
	ds_write_b128 v129, v[40:43] offset:11664
	ds_write_b128 v129, v[44:47] offset:19440
	s_waitcnt lgkmcnt(0)
	s_barrier
	ds_read_b128 v[24:27], v129
	ds_read_b128 v[28:31], v129 offset:3888
	ds_read_b128 v[32:35], v129 offset:7776
	;; [unrolled: 1-line block ×5, first 2 shown]
	s_waitcnt lgkmcnt(5)
	v_mul_f64 v[54:55], v[2:3], v[26:27]
	v_mul_f64 v[2:3], v[2:3], v[24:25]
	s_waitcnt lgkmcnt(4)
	v_mul_f64 v[56:57], v[6:7], v[30:31]
	v_mul_f64 v[6:7], v[6:7], v[28:29]
	s_waitcnt lgkmcnt(3)
	v_mul_f64 v[58:59], v[10:11], v[34:35]
	v_mul_f64 v[10:11], v[10:11], v[32:33]
	s_waitcnt lgkmcnt(2)
	v_mul_f64 v[60:61], v[14:15], v[38:39]
	v_mul_f64 v[14:15], v[14:15], v[36:37]
	s_waitcnt lgkmcnt(1)
	v_mul_f64 v[62:63], v[18:19], v[42:43]
	v_mul_f64 v[18:19], v[18:19], v[40:41]
	v_fma_f64 v[24:25], v[0:1], v[24:25], v[54:55]
	v_fma_f64 v[2:3], v[0:1], v[26:27], -v[2:3]
	v_fma_f64 v[26:27], v[4:5], v[28:29], v[56:57]
	v_fma_f64 v[6:7], v[4:5], v[30:31], -v[6:7]
	s_waitcnt lgkmcnt(0)
	v_mul_f64 v[64:65], v[22:23], v[46:47]
	v_mul_f64 v[22:23], v[22:23], v[44:45]
	v_fma_f64 v[28:29], v[8:9], v[32:33], v[58:59]
	v_fma_f64 v[10:11], v[8:9], v[34:35], -v[10:11]
	v_fma_f64 v[30:31], v[12:13], v[36:37], v[60:61]
	v_fma_f64 v[14:15], v[12:13], v[38:39], -v[14:15]
	v_fma_f64 v[32:33], v[16:17], v[40:41], v[62:63]
	v_mul_f64 v[0:1], v[24:25], s[4:5]
	v_mul_f64 v[2:3], v[2:3], s[4:5]
	v_fma_f64 v[16:17], v[16:17], v[42:43], -v[18:19]
	v_mul_f64 v[4:5], v[26:27], s[4:5]
	v_mul_f64 v[6:7], v[6:7], s[4:5]
	;; [unrolled: 1-line block ×4, first 2 shown]
	v_fma_f64 v[18:19], v[20:21], v[44:45], v[64:65]
	v_fma_f64 v[20:21], v[20:21], v[46:47], -v[22:23]
	v_mul_f64 v[12:13], v[30:31], s[4:5]
	v_mul_f64 v[14:15], v[14:15], s[4:5]
	v_add_co_u32_e32 v52, vcc, s0, v50
	v_addc_co_u32_e32 v53, vcc, v51, v140, vcc
	global_store_dwordx4 v[48:49], v[0:3], off
	global_store_dwordx4 v[50:51], v[4:7], off
	;; [unrolled: 1-line block ×3, first 2 shown]
	v_mul_f64 v[0:1], v[32:33], s[4:5]
	v_mul_f64 v[2:3], v[16:17], s[4:5]
	;; [unrolled: 1-line block ×4, first 2 shown]
	v_add_co_u32_e32 v8, vcc, s0, v52
	v_addc_co_u32_e32 v9, vcc, v53, v141, vcc
	global_store_dwordx4 v[8:9], v[12:15], off
	v_mov_b32_e32 v10, s2
	v_add_co_u32_e32 v8, vcc, s0, v8
	v_addc_co_u32_e32 v9, vcc, v9, v10, vcc
	global_store_dwordx4 v[8:9], v[0:3], off
	s_nop 0
	v_mov_b32_e32 v1, s2
	v_add_co_u32_e32 v0, vcc, s0, v8
	v_addc_co_u32_e32 v1, vcc, v9, v1, vcc
	global_store_dwordx4 v[0:1], v[4:7], off
.LBB0_2:
	s_endpgm
	.section	.rodata,"a",@progbits
	.p2align	6, 0x0
	.amdhsa_kernel bluestein_single_back_len1458_dim1_dp_op_CI_CI
		.amdhsa_group_segment_fixed_size 23328
		.amdhsa_private_segment_fixed_size 0
		.amdhsa_kernarg_size 104
		.amdhsa_user_sgpr_count 6
		.amdhsa_user_sgpr_private_segment_buffer 1
		.amdhsa_user_sgpr_dispatch_ptr 0
		.amdhsa_user_sgpr_queue_ptr 0
		.amdhsa_user_sgpr_kernarg_segment_ptr 1
		.amdhsa_user_sgpr_dispatch_id 0
		.amdhsa_user_sgpr_flat_scratch_init 0
		.amdhsa_user_sgpr_private_segment_size 0
		.amdhsa_uses_dynamic_stack 0
		.amdhsa_system_sgpr_private_segment_wavefront_offset 0
		.amdhsa_system_sgpr_workgroup_id_x 1
		.amdhsa_system_sgpr_workgroup_id_y 0
		.amdhsa_system_sgpr_workgroup_id_z 0
		.amdhsa_system_sgpr_workgroup_info 0
		.amdhsa_system_vgpr_workitem_id 0
		.amdhsa_next_free_vgpr 191
		.amdhsa_next_free_sgpr 20
		.amdhsa_reserve_vcc 1
		.amdhsa_reserve_flat_scratch 0
		.amdhsa_float_round_mode_32 0
		.amdhsa_float_round_mode_16_64 0
		.amdhsa_float_denorm_mode_32 3
		.amdhsa_float_denorm_mode_16_64 3
		.amdhsa_dx10_clamp 1
		.amdhsa_ieee_mode 1
		.amdhsa_fp16_overflow 0
		.amdhsa_exception_fp_ieee_invalid_op 0
		.amdhsa_exception_fp_denorm_src 0
		.amdhsa_exception_fp_ieee_div_zero 0
		.amdhsa_exception_fp_ieee_overflow 0
		.amdhsa_exception_fp_ieee_underflow 0
		.amdhsa_exception_fp_ieee_inexact 0
		.amdhsa_exception_int_div_zero 0
	.end_amdhsa_kernel
	.text
.Lfunc_end0:
	.size	bluestein_single_back_len1458_dim1_dp_op_CI_CI, .Lfunc_end0-bluestein_single_back_len1458_dim1_dp_op_CI_CI
                                        ; -- End function
	.section	.AMDGPU.csdata,"",@progbits
; Kernel info:
; codeLenInByte = 8220
; NumSgprs: 24
; NumVgprs: 191
; ScratchSize: 0
; MemoryBound: 0
; FloatMode: 240
; IeeeMode: 1
; LDSByteSize: 23328 bytes/workgroup (compile time only)
; SGPRBlocks: 2
; VGPRBlocks: 47
; NumSGPRsForWavesPerEU: 24
; NumVGPRsForWavesPerEU: 191
; Occupancy: 1
; WaveLimiterHint : 1
; COMPUTE_PGM_RSRC2:SCRATCH_EN: 0
; COMPUTE_PGM_RSRC2:USER_SGPR: 6
; COMPUTE_PGM_RSRC2:TRAP_HANDLER: 0
; COMPUTE_PGM_RSRC2:TGID_X_EN: 1
; COMPUTE_PGM_RSRC2:TGID_Y_EN: 0
; COMPUTE_PGM_RSRC2:TGID_Z_EN: 0
; COMPUTE_PGM_RSRC2:TIDIG_COMP_CNT: 0
	.type	__hip_cuid_e89820ee7c8f4832,@object ; @__hip_cuid_e89820ee7c8f4832
	.section	.bss,"aw",@nobits
	.globl	__hip_cuid_e89820ee7c8f4832
__hip_cuid_e89820ee7c8f4832:
	.byte	0                               ; 0x0
	.size	__hip_cuid_e89820ee7c8f4832, 1

	.ident	"AMD clang version 19.0.0git (https://github.com/RadeonOpenCompute/llvm-project roc-6.4.0 25133 c7fe45cf4b819c5991fe208aaa96edf142730f1d)"
	.section	".note.GNU-stack","",@progbits
	.addrsig
	.addrsig_sym __hip_cuid_e89820ee7c8f4832
	.amdgpu_metadata
---
amdhsa.kernels:
  - .args:
      - .actual_access:  read_only
        .address_space:  global
        .offset:         0
        .size:           8
        .value_kind:     global_buffer
      - .actual_access:  read_only
        .address_space:  global
        .offset:         8
        .size:           8
        .value_kind:     global_buffer
      - .actual_access:  read_only
        .address_space:  global
        .offset:         16
        .size:           8
        .value_kind:     global_buffer
      - .actual_access:  read_only
        .address_space:  global
        .offset:         24
        .size:           8
        .value_kind:     global_buffer
      - .actual_access:  read_only
        .address_space:  global
        .offset:         32
        .size:           8
        .value_kind:     global_buffer
      - .offset:         40
        .size:           8
        .value_kind:     by_value
      - .address_space:  global
        .offset:         48
        .size:           8
        .value_kind:     global_buffer
      - .address_space:  global
        .offset:         56
        .size:           8
        .value_kind:     global_buffer
      - .address_space:  global
        .offset:         64
        .size:           8
        .value_kind:     global_buffer
      - .address_space:  global
        .offset:         72
        .size:           8
        .value_kind:     global_buffer
      - .offset:         80
        .size:           4
        .value_kind:     by_value
      - .address_space:  global
        .offset:         88
        .size:           8
        .value_kind:     global_buffer
      - .address_space:  global
        .offset:         96
        .size:           8
        .value_kind:     global_buffer
    .group_segment_fixed_size: 23328
    .kernarg_segment_align: 8
    .kernarg_segment_size: 104
    .language:       OpenCL C
    .language_version:
      - 2
      - 0
    .max_flat_workgroup_size: 243
    .name:           bluestein_single_back_len1458_dim1_dp_op_CI_CI
    .private_segment_fixed_size: 0
    .sgpr_count:     24
    .sgpr_spill_count: 0
    .symbol:         bluestein_single_back_len1458_dim1_dp_op_CI_CI.kd
    .uniform_work_group_size: 1
    .uses_dynamic_stack: false
    .vgpr_count:     191
    .vgpr_spill_count: 0
    .wavefront_size: 64
amdhsa.target:   amdgcn-amd-amdhsa--gfx906
amdhsa.version:
  - 1
  - 2
...

	.end_amdgpu_metadata
